;; amdgpu-corpus repo=zjin-lcf/HeCBench kind=compiled arch=gfx906 opt=O3
	.amdgcn_target "amdgcn-amd-amdhsa--gfx906"
	.amdhsa_code_object_version 6
	.section	.text._Z46moe_align_block_size_small_batch_expert_kernelIiLi256EEvPKT_PiS3_S3_S3_iiiii,"axG",@progbits,_Z46moe_align_block_size_small_batch_expert_kernelIiLi256EEvPKT_PiS3_S3_S3_iiiii,comdat
	.protected	_Z46moe_align_block_size_small_batch_expert_kernelIiLi256EEvPKT_PiS3_S3_S3_iiiii ; -- Begin function _Z46moe_align_block_size_small_batch_expert_kernelIiLi256EEvPKT_PiS3_S3_S3_iiiii
	.globl	_Z46moe_align_block_size_small_batch_expert_kernelIiLi256EEvPKT_PiS3_S3_S3_iiiii
	.p2align	8
	.type	_Z46moe_align_block_size_small_batch_expert_kernelIiLi256EEvPKT_PiS3_S3_S3_iiiii,@function
_Z46moe_align_block_size_small_batch_expert_kernelIiLi256EEvPKT_PiS3_S3_S3_iiiii: ; @_Z46moe_align_block_size_small_batch_expert_kernelIiLi256EEvPKT_PiS3_S3_S3_iiiii
; %bb.0:
	s_load_dwordx4 s[8:11], s[4:5], 0x28
	s_load_dwordx2 s[12:13], s[4:5], 0x8
	s_movk_i32 s0, 0xff
	v_cmp_lt_u32_e32 vcc, s0, v0
	s_waitcnt lgkmcnt(0)
	s_abs_i32 s34, s9
	v_cvt_f32_u32_e32 v1, s34
	v_rcp_iflag_f32_e32 v1, v1
	v_mul_f32_e32 v1, 0x4f7ffffe, v1
	v_cvt_u32_f32_e32 v1, v1
	v_readfirstlane_b32 s35, v1
	s_and_saveexec_b64 s[0:1], vcc
	s_xor_b64 s[14:15], exec, s[0:1]
	s_cbranch_execz .LBB0_55
; %bb.1:
	s_sub_i32 s0, 0, s34
	s_mul_i32 s1, s0, s35
	s_load_dwordx2 s[18:19], s[4:5], 0x0
	s_load_dwordx2 s[16:17], s[4:5], 0x20
	s_load_dword s0, s[4:5], 0x4c
	s_add_i32 s38, s9, -1
	s_add_i32 s40, s38, s11
	s_mul_hi_u32 s1, s35, s1
	s_abs_i32 s36, s40
	s_add_i32 s35, s35, s1
	s_cmp_lt_i32 s8, 1
	s_cbranch_scc1 .LBB0_4
; %bb.2:
	v_mov_b32_e32 v1, 0xfffffc08
	v_lshl_add_u32 v1, v0, 2, v1
	v_mul_lo_u32 v2, s8, v1
	v_mov_b32_e32 v1, 0
	s_mov_b32 s1, s8
	v_add3_u32 v2, v2, 0, 4
.LBB0_3:                                ; =>This Inner Loop Header: Depth=1
	s_add_i32 s1, s1, -1
	ds_write_b32 v2, v1
	s_cmp_eq_u32 s1, 0
	v_add_u32_e32 v2, 4, v2
	s_cbranch_scc0 .LBB0_3
.LBB0_4:
	s_load_dwordx4 s[4:7], s[4:5], 0x10
	v_add_u32_e32 v5, 0xffffff00, v0
	s_waitcnt lgkmcnt(0)
	s_and_b32 s31, 0xffff, s0
	s_lshl_b32 s39, s8, 2
	s_mul_hi_u32 s37, s36, s35
	s_add_i32 s30, s31, 0xffffff00
	s_add_i32 s33, s39, 0
	v_cmp_gt_i32_e64 s[0:1], s10, v5
	s_and_saveexec_b64 s[20:21], s[0:1]
	s_cbranch_execz .LBB0_11
; %bb.5:
	v_add_u32_e32 v1, 0xffffff01, v0
	v_mul_lo_u32 v1, s8, v1
	s_cmp_eq_u64 s[16:17], 0
	v_mov_b32_e32 v2, s19
	s_cselect_b64 s[24:25], -1, 0
	v_lshl_add_u32 v6, v1, 2, s33
	v_lshlrev_b32_e32 v1, 2, v0
	v_add_co_u32_e32 v1, vcc, s18, v1
	s_cmp_lg_u64 s[16:17], 0
	v_addc_co_u32_e32 v2, vcc, 0, v2, vcc
	s_movk_i32 s26, 0xfc00
	s_cselect_b64 s[2:3], -1, 0
	v_add_co_u32_e32 v1, vcc, s26, v1
	s_lshl_b32 s26, s31, 2
	s_add_u32 s41, s26, 0xfffffc00
	s_addc_u32 s26, 0, -1
	v_cndmask_b32_e64 v3, 0, 1, s[2:3]
	s_mov_b64 s[22:23], 0
	v_addc_co_u32_e32 v2, vcc, -1, v2, vcc
	v_cmp_ne_u32_e64 s[2:3], 1, v3
	v_mov_b32_e32 v7, s26
	v_mov_b32_e32 v8, v5
	s_branch .LBB0_8
.LBB0_6:                                ;   in Loop: Header=BB0_8 Depth=1
	s_waitcnt vmcnt(0)
	v_lshl_add_u32 v3, v3, 2, v6
	ds_read_b32 v4, v3 offset:4
	s_waitcnt lgkmcnt(0)
	v_add_u32_e32 v4, 1, v4
	ds_write_b32 v3, v4 offset:4
.LBB0_7:                                ;   in Loop: Header=BB0_8 Depth=1
	s_or_b64 exec, exec, s[26:27]
	v_add_u32_e32 v8, s30, v8
	v_cmp_le_i32_e32 vcc, s10, v8
	s_or_b64 s[22:23], vcc, s[22:23]
	v_add_co_u32_e32 v1, vcc, s41, v1
	v_addc_co_u32_e32 v2, vcc, v2, v7, vcc
	s_andn2_b64 exec, exec, s[22:23]
	s_cbranch_execz .LBB0_11
.LBB0_8:                                ; =>This Inner Loop Header: Depth=1
	global_load_dword v3, v[1:2], off
	s_and_b64 vcc, exec, s[2:3]
	s_cbranch_vccnz .LBB0_10
; %bb.9:                                ;   in Loop: Header=BB0_8 Depth=1
	s_waitcnt vmcnt(0)
	v_ashrrev_i32_e32 v4, 31, v3
	v_lshlrev_b64 v[3:4], 2, v[3:4]
	v_mov_b32_e32 v9, s17
	v_add_co_u32_e32 v3, vcc, s16, v3
	v_addc_co_u32_e32 v4, vcc, v9, v4, vcc
	global_load_dword v3, v[3:4], off
	s_andn2_b64 s[26:27], s[24:25], exec
	s_waitcnt vmcnt(0)
	v_cmp_ne_u32_e32 vcc, -1, v3
	s_and_b64 s[28:29], vcc, exec
	s_or_b64 s[28:29], s[26:27], s[28:29]
	s_and_saveexec_b64 s[26:27], s[28:29]
	s_cbranch_execz .LBB0_7
	s_branch .LBB0_6
.LBB0_10:                               ;   in Loop: Header=BB0_8 Depth=1
	s_mov_b64 s[28:29], s[24:25]
	s_and_saveexec_b64 s[26:27], s[28:29]
	s_cbranch_execz .LBB0_7
	s_branch .LBB0_6
.LBB0_11:
	s_or_b64 exec, exec, s[20:21]
	s_ashr_i32 s25, s40, 31
	s_ashr_i32 s24, s9, 31
	v_cmp_gt_i32_e64 s[2:3], s8, v5
	s_waitcnt vmcnt(0) lgkmcnt(0)
	s_barrier
	s_and_saveexec_b64 s[20:21], s[2:3]
	s_cbranch_execz .LBB0_19
; %bb.12:
	v_lshl_add_u32 v1, v5, 2, s33
	v_mov_b32_e32 v2, 0
	s_cmpk_lt_u32 s31, 0x101
	ds_write_b32 v1, v2 offset:4
	s_cbranch_scc1 .LBB0_19
; %bb.13:
	s_cmp_eq_u32 s8, 1
	v_lshlrev_b32_e32 v1, 2, v0
	s_cselect_b64 s[22:23], -1, 0
	s_add_i32 s26, s31, 0xfffffeff
	v_add_u32_e32 v2, 0, v1
	v_add_u32_e32 v1, 0xfffffc0c, v2
	s_lshl_b32 s28, s26, 2
	s_cmp_lt_u32 s26, 2.0
	v_add_u32_e32 v3, s28, v1
	s_cselect_b64 s[26:27], -1, 0
	v_cmp_ge_u32_e32 vcc, v3, v1
	v_add_u32_e32 v3, 0xfffffc08, v2
	s_and_b64 s[26:27], vcc, s[26:27]
	v_add_u32_e32 v4, s28, v3
	v_cmp_ge_u32_e32 vcc, v4, v3
	s_and_b64 s[22:23], s[22:23], s[26:27]
	s_and_b64 s[22:23], vcc, s[22:23]
	s_and_saveexec_b64 s[26:27], s[22:23]
	s_xor_b64 s[22:23], exec, s[26:27]
	s_cbranch_execz .LBB0_16
; %bb.14:
	ds_read_b32 v3, v3
	s_mov_b32 s26, s30
.LBB0_15:                               ; =>This Inner Loop Header: Depth=1
	ds_read_b32 v2, v1
	s_add_i32 s26, s26, -1
	s_cmp_lg_u32 s26, 0
	s_waitcnt lgkmcnt(0)
	v_add_u32_e32 v3, v2, v3
	ds_write_b32 v1, v3
	v_add_u32_e32 v1, 4, v1
                                        ; implicit-def: $vgpr2
	s_cbranch_scc1 .LBB0_15
.LBB0_16:
	s_andn2_saveexec_b64 s[22:23], s[22:23]
	s_cbranch_execz .LBB0_19
; %bb.17:
	s_lshl_b32 s22, s8, 3
	v_add_u32_e32 v1, 0xfffffc04, v2
	s_mov_b32 s23, s30
.LBB0_18:                               ; =>This Inner Loop Header: Depth=1
	v_add_u32_e32 v2, s39, v1
	v_add_u32_e32 v3, s22, v1
	ds_read_b32 v4, v2
	ds_read_b32 v6, v3
	s_add_i32 s23, s23, -1
	s_cmp_eq_u32 s23, 0
	v_mov_b32_e32 v1, v2
	s_waitcnt lgkmcnt(0)
	v_add_u32_e32 v2, v6, v4
	ds_write_b32 v3, v2
	s_cbranch_scc0 .LBB0_18
.LBB0_19:
	s_or_b64 exec, exec, s[20:21]
	v_cmp_eq_u32_e32 vcc, 0, v5
	s_waitcnt lgkmcnt(0)
	s_barrier
	s_and_saveexec_b64 s[20:21], vcc
	s_cbranch_execz .LBB0_40
; %bb.20:
	v_mov_b32_e32 v1, 0
	s_cmp_lt_i32 s8, 1
	ds_write_b32 v1, v1
	s_cbranch_scc1 .LBB0_39
; %bb.21:
	s_mul_i32 s22, s30, s8
	s_add_i32 s28, s8, -1
	s_lshl_b32 s22, s22, 2
	s_lshl_b32 s39, s28, 2
	s_add_i32 s22, s33, s22
	s_add_i32 s40, s39, 0
	;; [unrolled: 1-line block ×5, first 2 shown]
	s_cmp_ge_u32 s22, s26
	s_cselect_b64 s[22:23], -1, 0
	s_cmp_lt_u32 s28, 2.0
	s_cselect_b64 s[28:29], -1, 0
	s_cmp_ge_u32 s40, 0
	s_cselect_b64 s[40:41], -1, 0
	s_and_b64 s[22:23], s[40:41], s[22:23]
	s_add_i32 s39, s27, s39
	s_cmp_ge_u32 s39, s27
	s_cselect_b64 s[40:41], -1, 0
	s_and_b64 s[22:23], s[22:23], s[28:29]
	s_and_b64 s[28:29], s[40:41], s[22:23]
	s_mov_b64 s[22:23], -1
	s_and_b64 vcc, exec, s[28:29]
	s_cbranch_vccz .LBB0_31
; %bb.22:
	s_cmp_lt_u32 s8, 8
	s_cbranch_scc1 .LBB0_26
; %bb.23:
	s_lshl_b32 s23, s31, 2
	s_addk_i32 s23, 0xfc04
	s_and_b32 s22, s8, 0x7ffffff8
	s_mov_b32 s27, 0
	s_mul_i32 s23, s8, s23
	s_mov_b32 s28, 0
.LBB0_24:                               ; =>This Inner Loop Header: Depth=1
	s_add_i32 s39, s26, s23
	v_mov_b32_e32 v3, s39
	ds_read_b32 v4, v3
	s_mov_b32 s29, s28
	v_mov_b32_e32 v2, s26
	s_waitcnt lgkmcnt(0)
	v_readfirstlane_b32 s28, v4
	s_add_i32 s28, s38, s28
	s_abs_i32 s40, s28
	s_mul_hi_u32 s41, s40, s35
	s_mul_i32 s41, s41, s34
	s_sub_i32 s40, s40, s41
	s_ashr_i32 s39, s28, 31
	s_sub_i32 s41, s40, s34
	s_cmp_ge_u32 s40, s34
	s_cselect_b32 s40, s41, s40
	s_sub_i32 s41, s40, s34
	s_cmp_ge_u32 s40, s34
	s_cselect_b32 s40, s41, s40
	s_xor_b32 s40, s40, s39
	s_sub_i32 s39, s39, s40
	s_add_i32 s27, s27, s39
	s_add_i32 s27, s27, s28
	v_mov_b32_e32 v4, s27
	ds_write_b32 v2, v4
	ds_read_b32 v4, v3 offset:4
	s_waitcnt lgkmcnt(0)
	v_readfirstlane_b32 s28, v4
	s_add_i32 s28, s38, s28
	s_abs_i32 s40, s28
	s_mul_hi_u32 s41, s40, s35
	s_mul_i32 s41, s41, s34
	s_sub_i32 s40, s40, s41
	s_ashr_i32 s39, s28, 31
	s_sub_i32 s41, s40, s34
	s_cmp_ge_u32 s40, s34
	s_cselect_b32 s40, s41, s40
	s_sub_i32 s41, s40, s34
	s_cmp_ge_u32 s40, s34
	s_cselect_b32 s40, s41, s40
	s_xor_b32 s40, s40, s39
	s_sub_i32 s39, s39, s40
	s_add_i32 s27, s27, s39
	s_add_i32 s27, s27, s28
	v_mov_b32_e32 v4, s27
	ds_write_b32 v2, v4 offset:4
	ds_read_b32 v4, v3 offset:8
	s_waitcnt lgkmcnt(0)
	v_readfirstlane_b32 s28, v4
	s_add_i32 s28, s38, s28
	s_abs_i32 s40, s28
	s_mul_hi_u32 s41, s40, s35
	s_mul_i32 s41, s41, s34
	s_sub_i32 s40, s40, s41
	s_ashr_i32 s39, s28, 31
	s_sub_i32 s41, s40, s34
	s_cmp_ge_u32 s40, s34
	s_cselect_b32 s40, s41, s40
	s_sub_i32 s41, s40, s34
	s_cmp_ge_u32 s40, s34
	s_cselect_b32 s40, s41, s40
	s_xor_b32 s40, s40, s39
	s_sub_i32 s39, s39, s40
	s_add_i32 s27, s27, s39
	s_add_i32 s27, s27, s28
	v_mov_b32_e32 v4, s27
	ds_write_b32 v2, v4 offset:8
	;; [unrolled: 21-line block ×6, first 2 shown]
	ds_read_b32 v3, v3 offset:28
	s_waitcnt lgkmcnt(0)
	v_readfirstlane_b32 s28, v3
	s_add_i32 s39, s38, s28
	s_abs_i32 s28, s39
	s_mul_hi_u32 s41, s28, s35
	s_mul_i32 s41, s41, s34
	s_sub_i32 s28, s28, s41
	s_ashr_i32 s40, s39, 31
	s_sub_i32 s41, s28, s34
	s_cmp_ge_u32 s28, s34
	s_cselect_b32 s28, s41, s28
	s_sub_i32 s41, s28, s34
	s_cmp_ge_u32 s28, s34
	s_cselect_b32 s41, s41, s28
	s_xor_b32 s41, s41, s40
	s_sub_i32 s40, s40, s41
	s_add_i32 s27, s27, s40
	s_add_i32 s28, s29, 8
	s_add_i32 s26, s26, 32
	s_add_i32 s27, s27, s39
	v_mov_b32_e32 v3, s27
	s_cmp_eq_u32 s22, s28
	ds_write_b32 v2, v3 offset:28
	s_cbranch_scc0 .LBB0_24
; %bb.25:
	s_add_i32 s26, s29, 9
	s_branch .LBB0_27
.LBB0_26:
	s_mov_b32 s27, 0
	s_mov_b32 s26, 1
.LBB0_27:
	s_and_b32 s22, s8, 7
	s_cmp_eq_u32 s22, 0
	s_cbranch_scc1 .LBB0_30
; %bb.28:
	s_lshl_b32 s23, s31, 2
	s_addk_i32 s23, 0xfc04
	s_lshl_b32 s26, s26, 2
	s_mul_i32 s23, s8, s23
	s_add_i32 s26, s26, 0
.LBB0_29:                               ; =>This Inner Loop Header: Depth=1
	s_add_i32 s28, s26, s23
	v_mov_b32_e32 v3, s28
	ds_read_b32 v3, v3
	v_mov_b32_e32 v2, s26
	s_waitcnt lgkmcnt(0)
	v_readfirstlane_b32 s28, v3
	s_add_i32 s28, s38, s28
	s_abs_i32 s39, s28
	s_mul_hi_u32 s40, s39, s35
	s_mul_i32 s40, s40, s34
	s_sub_i32 s39, s39, s40
	s_ashr_i32 s29, s28, 31
	s_sub_i32 s40, s39, s34
	s_cmp_ge_u32 s39, s34
	s_cselect_b32 s39, s40, s39
	s_sub_i32 s40, s39, s34
	s_cmp_ge_u32 s39, s34
	s_cselect_b32 s39, s40, s39
	s_xor_b32 s39, s39, s29
	s_sub_i32 s29, s29, s39
	s_add_i32 s27, s27, s29
	s_add_i32 s26, s26, 4
	s_add_i32 s22, s22, -1
	s_add_i32 s27, s27, s28
	v_mov_b32_e32 v3, s27
	s_cmp_lg_u32 s22, 0
	ds_write_b32 v2, v3
	s_cbranch_scc1 .LBB0_29
.LBB0_30:
	s_mov_b64 s[22:23], 0
.LBB0_31:
	s_and_b64 vcc, exec, s[22:23]
	s_cbranch_vccz .LBB0_39
; %bb.32:
	s_cmp_lt_u32 s8, 8
	s_mov_b32 s23, 1
	s_cbranch_scc1 .LBB0_36
; %bb.33:
	s_lshl_b32 s23, s31, 2
	s_addk_i32 s23, 0xfc04
	s_and_b32 s22, s8, 0x7ffffff8
	s_mul_i32 s23, s8, s23
	s_mov_b32 s26, 0
	s_mov_b32 s27, 0
	;; [unrolled: 1-line block ×3, first 2 shown]
.LBB0_34:                               ; =>This Inner Loop Header: Depth=1
	s_add_i32 s39, s26, s23
	v_mov_b32_e32 v3, s39
	ds_read_b32 v4, v3 offset:4
	s_mov_b32 s29, s28
	v_mov_b32_e32 v2, s26
	s_waitcnt lgkmcnt(0)
	v_readfirstlane_b32 s28, v4
	s_add_i32 s28, s38, s28
	s_abs_i32 s40, s28
	s_mul_hi_u32 s41, s40, s35
	s_mul_i32 s41, s41, s34
	s_sub_i32 s40, s40, s41
	s_ashr_i32 s39, s28, 31
	s_sub_i32 s41, s40, s34
	s_cmp_ge_u32 s40, s34
	s_cselect_b32 s40, s41, s40
	s_sub_i32 s41, s40, s34
	s_cmp_ge_u32 s40, s34
	s_cselect_b32 s40, s41, s40
	s_xor_b32 s40, s40, s39
	s_sub_i32 s39, s39, s40
	s_add_i32 s27, s27, s39
	s_add_i32 s27, s27, s28
	v_mov_b32_e32 v4, s27
	ds_write_b32 v2, v4 offset:4
	ds_read_b32 v4, v3 offset:8
	s_waitcnt lgkmcnt(0)
	v_readfirstlane_b32 s28, v4
	s_add_i32 s28, s38, s28
	s_abs_i32 s40, s28
	s_mul_hi_u32 s41, s40, s35
	s_mul_i32 s41, s41, s34
	s_sub_i32 s40, s40, s41
	s_ashr_i32 s39, s28, 31
	s_sub_i32 s41, s40, s34
	s_cmp_ge_u32 s40, s34
	s_cselect_b32 s40, s41, s40
	s_sub_i32 s41, s40, s34
	s_cmp_ge_u32 s40, s34
	s_cselect_b32 s40, s41, s40
	s_xor_b32 s40, s40, s39
	s_sub_i32 s39, s39, s40
	s_add_i32 s27, s27, s39
	s_add_i32 s27, s27, s28
	v_mov_b32_e32 v4, s27
	ds_write_b32 v2, v4 offset:8
	ds_read_b32 v4, v3 offset:12
	;; [unrolled: 21-line block ×7, first 2 shown]
	s_add_i32 s26, s26, 32
	s_waitcnt lgkmcnt(0)
	v_readfirstlane_b32 s28, v3
	s_add_i32 s39, s38, s28
	s_abs_i32 s28, s39
	s_mul_hi_u32 s41, s28, s35
	s_mul_i32 s41, s41, s34
	s_sub_i32 s28, s28, s41
	s_ashr_i32 s40, s39, 31
	s_sub_i32 s41, s28, s34
	s_cmp_ge_u32 s28, s34
	s_cselect_b32 s28, s41, s28
	s_sub_i32 s41, s28, s34
	s_cmp_ge_u32 s28, s34
	s_cselect_b32 s41, s41, s28
	s_xor_b32 s41, s41, s40
	s_sub_i32 s40, s40, s41
	s_add_i32 s27, s27, s40
	s_add_i32 s28, s29, 8
	;; [unrolled: 1-line block ×3, first 2 shown]
	v_mov_b32_e32 v3, s27
	s_cmp_eq_u32 s22, s28
	ds_write_b32 v2, v3 offset:32
	s_cbranch_scc0 .LBB0_34
; %bb.35:
	s_add_i32 s23, s29, 9
.LBB0_36:
	s_and_b32 s22, s8, 7
	s_cmp_eq_u32 s22, 0
	s_cbranch_scc1 .LBB0_39
; %bb.37:
	s_lshl_b32 s23, s23, 2
	s_add_i32 s23, s23, 0
	s_add_i32 s26, s23, -4
	v_mov_b32_e32 v2, s26
	ds_read_b32 v2, v2
	s_lshl_b32 s23, s31, 2
	s_addk_i32 s23, 0xfc04
	s_mul_i32 s23, s8, s23
.LBB0_38:                               ; =>This Inner Loop Header: Depth=1
	s_add_i32 s28, s26, s23
	v_mov_b32_e32 v4, s28
	ds_read_b32 v4, v4 offset:4
	s_add_i32 s27, s26, 4
	v_mov_b32_e32 v3, s26
	s_mov_b32 s26, s27
	s_waitcnt lgkmcnt(0)
	v_readfirstlane_b32 s27, v4
	s_add_i32 s27, s38, s27
	s_abs_i32 s29, s27
	s_mul_hi_u32 s39, s29, s35
	s_mul_i32 s39, s39, s34
	s_sub_i32 s29, s29, s39
	s_ashr_i32 s28, s27, 31
	s_sub_i32 s39, s29, s34
	s_cmp_ge_u32 s29, s34
	s_cselect_b32 s29, s39, s29
	s_sub_i32 s39, s29, s34
	s_cmp_ge_u32 s29, s34
	s_cselect_b32 s29, s39, s29
	s_xor_b32 s29, s29, s28
	s_sub_i32 s28, s28, s29
	s_add_i32 s22, s22, -1
	v_add_u32_e32 v2, s28, v2
	s_cmp_eq_u32 s22, 0
	v_add_u32_e32 v2, s27, v2
	ds_write_b32 v3, v2 offset:4
	s_cbranch_scc0 .LBB0_38
.LBB0_39:
	v_mov_b32_e32 v2, s33
	ds_read_b32 v2, v2
	s_waitcnt lgkmcnt(0)
	global_store_dword v1, v2, s[6:7]
.LBB0_40:
	s_or_b64 exec, exec, s[20:21]
	s_waitcnt vmcnt(0)
	s_barrier
	s_and_saveexec_b64 s[6:7], s[2:3]
	s_cbranch_execz .LBB0_44
; %bb.41:
	v_lshl_add_u32 v1, v5, 2, 0
	ds_read2_b32 v[1:2], v1 offset1:1
	s_waitcnt lgkmcnt(0)
	v_cmp_lt_i32_e32 vcc, v1, v2
	s_and_b64 exec, exec, vcc
	s_cbranch_execz .LBB0_44
; %bb.42:
	s_mov_b64 s[2:3], 0
	v_mov_b32_e32 v3, s5
.LBB0_43:                               ; =>This Inner Loop Header: Depth=1
	v_sub_u32_e32 v6, 0, v1
	v_max_i32_e32 v6, v1, v6
	v_mul_hi_u32 v7, v6, s35
	v_ashrrev_i32_e32 v4, 31, v1
	v_add_u32_e32 v1, s9, v1
	v_cmp_ge_i32_e32 vcc, v1, v2
	v_mul_lo_u32 v8, v7, s34
	s_or_b64 s[2:3], vcc, s[2:3]
	v_add_u32_e32 v9, 1, v7
	v_xor_b32_e32 v4, s24, v4
	v_sub_u32_e32 v6, v6, v8
	v_cmp_le_u32_e32 vcc, s34, v6
	v_subrev_u32_e32 v8, s34, v6
	v_cndmask_b32_e32 v7, v7, v9, vcc
	v_cndmask_b32_e32 v6, v6, v8, vcc
	v_add_u32_e32 v8, 1, v7
	v_cmp_le_u32_e32 vcc, s34, v6
	v_cndmask_b32_e32 v6, v7, v8, vcc
	v_xor_b32_e32 v6, v6, v4
	v_sub_u32_e32 v6, v6, v4
	v_ashrrev_i32_e32 v7, 31, v6
	v_lshlrev_b64 v[6:7], 2, v[6:7]
	v_add_co_u32_e32 v6, vcc, s4, v6
	v_addc_co_u32_e32 v7, vcc, v3, v7, vcc
	global_store_dword v[6:7], v5, off
	s_andn2_b64 exec, exec, s[2:3]
	s_cbranch_execnz .LBB0_43
.LBB0_44:
	s_or_b64 exec, exec, s[6:7]
	s_mul_i32 s3, s37, s34
	s_sub_i32 s3, s36, s3
	s_xor_b32 s2, s25, s24
	s_add_i32 s6, s37, 1
	s_sub_i32 s7, s3, s34
	s_cmp_ge_u32 s3, s34
	v_mov_b32_e32 v1, s33
	s_cselect_b32 s6, s6, s37
	ds_read_b32 v1, v1
	s_cselect_b32 s3, s7, s3
	s_add_i32 s7, s6, 1
	s_cmp_ge_u32 s3, s34
	s_cselect_b32 s3, s7, s6
	s_xor_b32 s3, s3, s2
	s_sub_i32 s9, s3, s2
	s_waitcnt lgkmcnt(0)
	v_readfirstlane_b32 s2, v1
	s_ashr_i32 s3, s2, 31
	s_abs_i32 s2, s2
	s_mul_hi_u32 s6, s2, s35
	s_mul_i32 s7, s6, s34
	s_sub_i32 s2, s2, s7
	s_xor_b32 s3, s3, s24
	s_add_i32 s7, s6, 1
	s_sub_i32 s20, s2, s34
	s_cmp_ge_u32 s2, s34
	s_cselect_b32 s6, s7, s6
	s_cselect_b32 s2, s20, s2
	s_add_i32 s7, s6, 1
	s_cmp_ge_u32 s2, s34
	s_cselect_b32 s2, s7, s6
	s_xor_b32 s2, s2, s3
	s_sub_i32 s2, s2, s3
	v_add_u32_e32 v1, s2, v5
	v_cmp_gt_i32_e32 vcc, s9, v1
	s_and_saveexec_b64 s[6:7], vcc
	s_cbranch_execz .LBB0_47
; %bb.45:
	v_ashrrev_i32_e32 v2, 31, v1
	v_lshlrev_b64 v[2:3], 2, v[1:2]
	s_lshl_b32 s2, s31, 2
	s_add_u32 s20, s2, 0xfffffc00
	v_mov_b32_e32 v4, s5
	v_add_co_u32_e32 v2, vcc, s4, v2
	s_addc_u32 s2, 0, -1
	v_addc_co_u32_e32 v3, vcc, v4, v3, vcc
	s_mov_b64 s[4:5], 0
	v_mov_b32_e32 v4, 0
	v_mov_b32_e32 v6, s2
.LBB0_46:                               ; =>This Inner Loop Header: Depth=1
	v_add_u32_e32 v1, s30, v1
	global_store_dword v[2:3], v4, off
	v_add_co_u32_e32 v2, vcc, s20, v2
	v_cmp_le_i32_e64 s[2:3], s9, v1
	s_or_b64 s[4:5], s[2:3], s[4:5]
	v_addc_co_u32_e32 v3, vcc, v3, v6, vcc
	s_andn2_b64 exec, exec, s[4:5]
	s_cbranch_execnz .LBB0_46
.LBB0_47:
	s_or_b64 exec, exec, s[6:7]
	s_and_saveexec_b64 s[2:3], s[0:1]
	s_cbranch_execz .LBB0_54
; %bb.48:
	v_mul_lo_u32 v1, s8, v5
	s_cmp_eq_u64 s[16:17], 0
	s_cselect_b64 s[6:7], -1, 0
	s_cmp_lg_u64 s[16:17], 0
	v_lshlrev_b32_e32 v0, 2, v0
	s_cselect_b64 s[0:1], -1, 0
	v_lshl_add_u32 v4, v1, 2, s33
	v_mov_b32_e32 v1, s19
	v_add_co_u32_e32 v0, vcc, s18, v0
	s_lshl_b32 s8, s31, 2
	v_addc_co_u32_e32 v1, vcc, 0, v1, vcc
	s_add_u32 s20, s8, 0xfffffc00
	v_add_co_u32_e32 v0, vcc, 0xfffffc00, v0
	s_addc_u32 s8, 0, -1
	v_cndmask_b32_e64 v2, 0, 1, s[0:1]
	s_mov_b64 s[4:5], 0
	v_addc_co_u32_e32 v1, vcc, -1, v1, vcc
	v_cmp_ne_u32_e64 s[0:1], 1, v2
	v_mov_b32_e32 v6, s8
	s_branch .LBB0_51
.LBB0_49:                               ;   in Loop: Header=BB0_51 Depth=1
	s_waitcnt vmcnt(0)
	v_lshlrev_b32_e32 v2, 2, v2
	v_add_u32_e32 v7, v4, v2
	v_add_u32_e32 v2, 0, v2
	ds_read_b32 v8, v7 offset:4
	ds_read_b32 v2, v2
	v_mov_b32_e32 v9, s13
	s_waitcnt lgkmcnt(0)
	v_add_u32_e32 v2, v2, v8
	v_ashrrev_i32_e32 v3, 31, v2
	v_lshlrev_b64 v[2:3], 2, v[2:3]
	v_add_co_u32_e32 v2, vcc, s12, v2
	v_addc_co_u32_e32 v3, vcc, v9, v3, vcc
	global_store_dword v[2:3], v5, off
	v_add_u32_e32 v2, 1, v8
	ds_write_b32 v7, v2 offset:4
.LBB0_50:                               ;   in Loop: Header=BB0_51 Depth=1
	s_or_b64 exec, exec, s[8:9]
	v_add_u32_e32 v5, s30, v5
	v_cmp_le_i32_e32 vcc, s10, v5
	s_or_b64 s[4:5], vcc, s[4:5]
	v_add_co_u32_e32 v0, vcc, s20, v0
	v_addc_co_u32_e32 v1, vcc, v1, v6, vcc
	s_andn2_b64 exec, exec, s[4:5]
	s_cbranch_execz .LBB0_54
.LBB0_51:                               ; =>This Inner Loop Header: Depth=1
	global_load_dword v2, v[0:1], off
	s_and_b64 vcc, exec, s[0:1]
	s_cbranch_vccnz .LBB0_53
; %bb.52:                               ;   in Loop: Header=BB0_51 Depth=1
	s_waitcnt vmcnt(0)
	v_ashrrev_i32_e32 v3, 31, v2
	v_lshlrev_b64 v[2:3], 2, v[2:3]
	v_mov_b32_e32 v7, s17
	v_add_co_u32_e32 v2, vcc, s16, v2
	v_addc_co_u32_e32 v3, vcc, v7, v3, vcc
	global_load_dword v2, v[2:3], off
	s_andn2_b64 s[8:9], s[6:7], exec
	s_waitcnt vmcnt(0)
	v_cmp_ne_u32_e32 vcc, -1, v2
	s_and_b64 s[18:19], vcc, exec
	s_or_b64 s[18:19], s[8:9], s[18:19]
	s_and_saveexec_b64 s[8:9], s[18:19]
	s_cbranch_execz .LBB0_50
	s_branch .LBB0_49
.LBB0_53:                               ;   in Loop: Header=BB0_51 Depth=1
	s_mov_b64 s[18:19], s[6:7]
	s_and_saveexec_b64 s[8:9], s[18:19]
	s_cbranch_execz .LBB0_50
	s_branch .LBB0_49
.LBB0_54:
	s_or_b64 exec, exec, s[2:3]
                                        ; implicit-def: $vgpr0
.LBB0_55:
	s_andn2_saveexec_b64 s[0:1], s[14:15]
	s_cbranch_execz .LBB0_60
; %bb.56:
	v_cmp_gt_i32_e32 vcc, s11, v0
	s_and_saveexec_b64 s[2:3], vcc
	s_cbranch_execz .LBB0_59
; %bb.57:
	v_lshlrev_b32_e32 v1, 2, v0
	s_waitcnt vmcnt(0)
	v_mov_b32_e32 v2, s13
	v_add_co_u32_e32 v1, vcc, s12, v1
	v_addc_co_u32_e32 v2, vcc, 0, v2, vcc
	s_mov_b64 s[4:5], 0
	v_mov_b32_e32 v3, s10
.LBB0_58:                               ; =>This Inner Loop Header: Depth=1
	v_add_u32_e32 v0, 0x100, v0
	global_store_dword v[1:2], v3, off
	v_add_co_u32_e32 v1, vcc, 0x400, v1
	v_cmp_le_i32_e64 s[0:1], s11, v0
	s_or_b64 s[4:5], s[0:1], s[4:5]
	v_addc_co_u32_e32 v2, vcc, 0, v2, vcc
	s_andn2_b64 exec, exec, s[4:5]
	s_cbranch_execnz .LBB0_58
.LBB0_59:
	s_or_b64 exec, exec, s[2:3]
	s_waitcnt vmcnt(0) lgkmcnt(0)
	s_barrier
.LBB0_60:
	s_endpgm
	.section	.rodata,"a",@progbits
	.p2align	6, 0x0
	.amdhsa_kernel _Z46moe_align_block_size_small_batch_expert_kernelIiLi256EEvPKT_PiS3_S3_S3_iiiii
		.amdhsa_group_segment_fixed_size 0
		.amdhsa_private_segment_fixed_size 0
		.amdhsa_kernarg_size 320
		.amdhsa_user_sgpr_count 6
		.amdhsa_user_sgpr_private_segment_buffer 1
		.amdhsa_user_sgpr_dispatch_ptr 0
		.amdhsa_user_sgpr_queue_ptr 0
		.amdhsa_user_sgpr_kernarg_segment_ptr 1
		.amdhsa_user_sgpr_dispatch_id 0
		.amdhsa_user_sgpr_flat_scratch_init 0
		.amdhsa_user_sgpr_private_segment_size 0
		.amdhsa_uses_dynamic_stack 0
		.amdhsa_system_sgpr_private_segment_wavefront_offset 0
		.amdhsa_system_sgpr_workgroup_id_x 1
		.amdhsa_system_sgpr_workgroup_id_y 0
		.amdhsa_system_sgpr_workgroup_id_z 0
		.amdhsa_system_sgpr_workgroup_info 0
		.amdhsa_system_vgpr_workitem_id 0
		.amdhsa_next_free_vgpr 10
		.amdhsa_next_free_sgpr 42
		.amdhsa_reserve_vcc 1
		.amdhsa_reserve_flat_scratch 0
		.amdhsa_float_round_mode_32 0
		.amdhsa_float_round_mode_16_64 0
		.amdhsa_float_denorm_mode_32 3
		.amdhsa_float_denorm_mode_16_64 3
		.amdhsa_dx10_clamp 1
		.amdhsa_ieee_mode 1
		.amdhsa_fp16_overflow 0
		.amdhsa_exception_fp_ieee_invalid_op 0
		.amdhsa_exception_fp_denorm_src 0
		.amdhsa_exception_fp_ieee_div_zero 0
		.amdhsa_exception_fp_ieee_overflow 0
		.amdhsa_exception_fp_ieee_underflow 0
		.amdhsa_exception_fp_ieee_inexact 0
		.amdhsa_exception_int_div_zero 0
	.end_amdhsa_kernel
	.section	.text._Z46moe_align_block_size_small_batch_expert_kernelIiLi256EEvPKT_PiS3_S3_S3_iiiii,"axG",@progbits,_Z46moe_align_block_size_small_batch_expert_kernelIiLi256EEvPKT_PiS3_S3_S3_iiiii,comdat
.Lfunc_end0:
	.size	_Z46moe_align_block_size_small_batch_expert_kernelIiLi256EEvPKT_PiS3_S3_S3_iiiii, .Lfunc_end0-_Z46moe_align_block_size_small_batch_expert_kernelIiLi256EEvPKT_PiS3_S3_S3_iiiii
                                        ; -- End function
	.set _Z46moe_align_block_size_small_batch_expert_kernelIiLi256EEvPKT_PiS3_S3_S3_iiiii.num_vgpr, 10
	.set _Z46moe_align_block_size_small_batch_expert_kernelIiLi256EEvPKT_PiS3_S3_S3_iiiii.num_agpr, 0
	.set _Z46moe_align_block_size_small_batch_expert_kernelIiLi256EEvPKT_PiS3_S3_S3_iiiii.numbered_sgpr, 42
	.set _Z46moe_align_block_size_small_batch_expert_kernelIiLi256EEvPKT_PiS3_S3_S3_iiiii.num_named_barrier, 0
	.set _Z46moe_align_block_size_small_batch_expert_kernelIiLi256EEvPKT_PiS3_S3_S3_iiiii.private_seg_size, 0
	.set _Z46moe_align_block_size_small_batch_expert_kernelIiLi256EEvPKT_PiS3_S3_S3_iiiii.uses_vcc, 1
	.set _Z46moe_align_block_size_small_batch_expert_kernelIiLi256EEvPKT_PiS3_S3_S3_iiiii.uses_flat_scratch, 0
	.set _Z46moe_align_block_size_small_batch_expert_kernelIiLi256EEvPKT_PiS3_S3_S3_iiiii.has_dyn_sized_stack, 0
	.set _Z46moe_align_block_size_small_batch_expert_kernelIiLi256EEvPKT_PiS3_S3_S3_iiiii.has_recursion, 0
	.set _Z46moe_align_block_size_small_batch_expert_kernelIiLi256EEvPKT_PiS3_S3_S3_iiiii.has_indirect_call, 0
	.section	.AMDGPU.csdata,"",@progbits
; Kernel info:
; codeLenInByte = 3840
; TotalNumSgprs: 46
; NumVgprs: 10
; ScratchSize: 0
; MemoryBound: 0
; FloatMode: 240
; IeeeMode: 1
; LDSByteSize: 0 bytes/workgroup (compile time only)
; SGPRBlocks: 5
; VGPRBlocks: 2
; NumSGPRsForWavesPerEU: 46
; NumVGPRsForWavesPerEU: 10
; Occupancy: 10
; WaveLimiterHint : 1
; COMPUTE_PGM_RSRC2:SCRATCH_EN: 0
; COMPUTE_PGM_RSRC2:USER_SGPR: 6
; COMPUTE_PGM_RSRC2:TRAP_HANDLER: 0
; COMPUTE_PGM_RSRC2:TGID_X_EN: 1
; COMPUTE_PGM_RSRC2:TGID_Y_EN: 0
; COMPUTE_PGM_RSRC2:TGID_Z_EN: 0
; COMPUTE_PGM_RSRC2:TIDIG_COMP_CNT: 0
	.section	.text._Z27moe_align_block_size_kernelIiEvPKT_PiS3_S3_S3_iiiiiS3_ii,"axG",@progbits,_Z27moe_align_block_size_kernelIiEvPKT_PiS3_S3_S3_iiiiiS3_ii,comdat
	.protected	_Z27moe_align_block_size_kernelIiEvPKT_PiS3_S3_S3_iiiiiS3_ii ; -- Begin function _Z27moe_align_block_size_kernelIiEvPKT_PiS3_S3_S3_iiiiiS3_ii
	.globl	_Z27moe_align_block_size_kernelIiEvPKT_PiS3_S3_S3_iiiiiS3_ii
	.p2align	8
	.type	_Z27moe_align_block_size_kernelIiEvPKT_PiS3_S3_S3_iiiiiS3_ii,@function
_Z27moe_align_block_size_kernelIiEvPKT_PiS3_S3_S3_iiiiiS3_ii: ; @_Z27moe_align_block_size_kernelIiEvPKT_PiS3_S3_S3_iiiiiS3_ii
; %bb.0:
	s_load_dwordx4 s[8:11], s[4:5], 0x28
	s_load_dword s27, s[4:5], 0x38
	s_load_dword s12, s[4:5], 0x48
	s_mov_b64 s[0:1], -1
	s_waitcnt lgkmcnt(0)
	s_abs_i32 s24, s11
	v_cvt_f32_u32_e32 v1, s24
	s_bitcmp0_b32 s6, 0
	v_rcp_iflag_f32_e32 v1, v1
	v_mul_f32_e32 v1, 0x4f7ffffe, v1
	v_cvt_u32_f32_e32 v1, v1
	v_readfirstlane_b32 s25, v1
	s_cbranch_scc1 .LBB1_5
; %bb.1:
	v_cmp_gt_i32_e32 vcc, s12, v0
	s_and_saveexec_b64 s[0:1], vcc
	s_cbranch_execz .LBB1_4
; %bb.2:
	s_load_dword s13, s[4:5], 0x5c
	s_load_dwordx2 s[2:3], s[4:5], 0x8
	s_mov_b64 s[6:7], 0
	v_mov_b32_e32 v3, s27
	v_mov_b32_e32 v1, v0
	s_waitcnt lgkmcnt(0)
	s_and_b32 s13, s13, 0xffff
	v_mov_b32_e32 v4, s3
.LBB1_3:                                ; =>This Inner Loop Header: Depth=1
	v_ashrrev_i32_e32 v2, 31, v1
	v_lshlrev_b64 v[5:6], 2, v[1:2]
	v_add_u32_e32 v1, s13, v1
	v_add_co_u32_e32 v5, vcc, s2, v5
	v_addc_co_u32_e32 v6, vcc, v4, v6, vcc
	v_cmp_le_i32_e32 vcc, s12, v1
	s_or_b64 s[6:7], vcc, s[6:7]
	global_store_dword v[5:6], v3, off
	s_andn2_b64 exec, exec, s[6:7]
	s_cbranch_execnz .LBB1_3
.LBB1_4:
	s_or_b64 exec, exec, s[0:1]
	s_mov_b64 s[0:1], 0
.LBB1_5:
	s_andn2_b64 vcc, exec, s[0:1]
	s_cbranch_vccnz .LBB1_54
; %bb.6:
	s_sub_i32 s0, 0, s24
	s_add_i32 s28, s11, -1
	s_mul_i32 s0, s0, s25
	s_add_i32 s29, s28, s12
	s_mul_hi_u32 s0, s25, s0
	s_abs_i32 s26, s29
	s_add_i32 s25, s25, s0
	s_cmp_lt_i32 s10, 1
	s_cbranch_scc1 .LBB1_31
; %bb.7:
	v_lshrrev_b32_e32 v1, 6, v0
	v_mul_lo_u32 v1, s10, v1
	s_cmp_lt_u32 s10, 8
	s_mov_b32 s2, 0
	s_cbranch_scc1 .LBB1_26
; %bb.8:
	v_mov_b32_e32 v2, 0x1080
	s_and_b32 s2, s10, 0x7ffffff8
	v_lshl_add_u32 v2, v1, 2, v2
	s_mov_b32 s3, 0
	v_mov_b32_e32 v3, 0
	s_branch .LBB1_10
.LBB1_9:                                ;   in Loop: Header=BB1_10 Depth=1
	s_or_b64 exec, exec, s[0:1]
	s_add_i32 s3, s3, 8
	s_cmp_eq_u32 s2, s3
	v_add_u32_e32 v2, 32, v2
	s_cbranch_scc1 .LBB1_26
.LBB1_10:                               ; =>This Inner Loop Header: Depth=1
	v_add_u32_e32 v4, s3, v1
	v_cmp_gt_i32_e32 vcc, s9, v4
	s_and_saveexec_b64 s[0:1], vcc
; %bb.11:                               ;   in Loop: Header=BB1_10 Depth=1
	ds_write_b32 v2, v3
; %bb.12:                               ;   in Loop: Header=BB1_10 Depth=1
	s_or_b64 exec, exec, s[0:1]
	v_add_u32_e32 v5, 1, v4
	v_cmp_gt_i32_e32 vcc, s9, v5
	s_and_saveexec_b64 s[0:1], vcc
; %bb.13:                               ;   in Loop: Header=BB1_10 Depth=1
	ds_write_b32 v2, v3 offset:4
; %bb.14:                               ;   in Loop: Header=BB1_10 Depth=1
	s_or_b64 exec, exec, s[0:1]
	v_add_u32_e32 v5, 2, v4
	v_cmp_gt_i32_e32 vcc, s9, v5
	s_and_saveexec_b64 s[0:1], vcc
; %bb.15:                               ;   in Loop: Header=BB1_10 Depth=1
	ds_write_b32 v2, v3 offset:8
	;; [unrolled: 7-line block ×6, first 2 shown]
; %bb.24:                               ;   in Loop: Header=BB1_10 Depth=1
	s_or_b64 exec, exec, s[0:1]
	v_add_u32_e32 v4, 7, v4
	v_cmp_gt_i32_e32 vcc, s9, v4
	s_and_saveexec_b64 s[0:1], vcc
	s_cbranch_execz .LBB1_9
; %bb.25:                               ;   in Loop: Header=BB1_10 Depth=1
	ds_write_b32 v2, v3 offset:28
	s_branch .LBB1_9
.LBB1_26:
	s_and_b32 s3, s10, 7
	s_cmp_eq_u32 s3, 0
	s_cbranch_scc1 .LBB1_31
; %bb.27:
	v_add_u32_e32 v1, s2, v1
	v_mov_b32_e32 v2, 0x1080
	v_lshl_add_u32 v2, v1, 2, v2
	v_mov_b32_e32 v3, 0
	s_branch .LBB1_29
.LBB1_28:                               ;   in Loop: Header=BB1_29 Depth=1
	s_or_b64 exec, exec, s[0:1]
	s_add_i32 s3, s3, -1
	v_add_u32_e32 v2, 4, v2
	s_cmp_lg_u32 s3, 0
	v_add_u32_e32 v1, 1, v1
	s_cbranch_scc0 .LBB1_31
.LBB1_29:                               ; =>This Inner Loop Header: Depth=1
	v_cmp_gt_i32_e32 vcc, s9, v1
	s_and_saveexec_b64 s[0:1], vcc
	s_cbranch_execz .LBB1_28
; %bb.30:                               ;   in Loop: Header=BB1_29 Depth=1
	ds_write_b32 v2, v3
	s_branch .LBB1_28
.LBB1_31:
	s_waitcnt vmcnt(0) lgkmcnt(0)
	s_barrier
	s_load_dword s0, s[4:5], 0x5c
	s_load_dwordx2 s[2:3], s[4:5], 0x40
	s_load_dwordx4 s[12:15], s[4:5], 0x10
	s_mul_hi_u32 s9, s26, s25
	v_cmp_gt_i32_e32 vcc, s27, v0
	s_waitcnt lgkmcnt(0)
	s_and_b32 s10, s0, 0xffff
	v_lshlrev_b32_e32 v5, 2, v0
	s_and_saveexec_b64 s[6:7], vcc
	s_cbranch_execz .LBB1_39
; %bb.32:
	s_load_dwordx2 s[16:17], s[4:5], 0x20
	s_load_dwordx2 s[0:1], s[4:5], 0x0
	s_mov_b64 s[4:5], 0
	v_mov_b32_e32 v6, 1
	v_mov_b32_e32 v7, 0x1080
	s_waitcnt lgkmcnt(0)
	s_cmp_eq_u64 s[16:17], 0
	s_cselect_b64 s[18:19], -1, 0
	s_cmp_lg_u64 s[16:17], 0
	s_cselect_b64 s[20:21], -1, 0
	v_mov_b32_e32 v2, s1
	v_add_co_u32_e32 v1, vcc, s0, v5
	v_cndmask_b32_e64 v3, 0, 1, s[20:21]
	v_addc_co_u32_e32 v2, vcc, 0, v2, vcc
	s_lshl_b32 s30, s10, 2
	v_cmp_ne_u32_e64 s[0:1], 1, v3
	v_mov_b32_e32 v8, v0
	s_branch .LBB1_34
.LBB1_33:                               ;   in Loop: Header=BB1_34 Depth=1
	s_or_b64 exec, exec, s[20:21]
	v_add_u32_e32 v8, s10, v8
	v_cmp_le_i32_e32 vcc, s27, v8
	s_or_b64 s[4:5], vcc, s[4:5]
	v_add_co_u32_e32 v1, vcc, s30, v1
	v_addc_co_u32_e32 v2, vcc, 0, v2, vcc
	s_andn2_b64 exec, exec, s[4:5]
	s_cbranch_execz .LBB1_39
.LBB1_34:                               ; =>This Inner Loop Header: Depth=1
	global_load_dword v3, v[1:2], off
	s_waitcnt vmcnt(0)
	v_cmp_gt_i32_e32 vcc, s8, v3
	s_and_saveexec_b64 s[20:21], vcc
	s_cbranch_execz .LBB1_33
; %bb.35:                               ;   in Loop: Header=BB1_34 Depth=1
	s_and_b64 vcc, exec, s[0:1]
	s_cbranch_vccnz .LBB1_37
; %bb.36:                               ;   in Loop: Header=BB1_34 Depth=1
	v_ashrrev_i32_e32 v4, 31, v3
	v_lshlrev_b64 v[3:4], 2, v[3:4]
	v_mov_b32_e32 v9, s17
	v_add_co_u32_e32 v3, vcc, s16, v3
	v_addc_co_u32_e32 v4, vcc, v9, v4, vcc
	global_load_dword v3, v[3:4], off
	s_andn2_b64 s[22:23], s[18:19], exec
	s_waitcnt vmcnt(0)
	v_cmp_ne_u32_e32 vcc, -1, v3
	s_and_b64 s[34:35], vcc, exec
	s_or_b64 s[22:23], s[22:23], s[34:35]
	s_and_b64 exec, exec, s[22:23]
	s_cbranch_execz .LBB1_33
	s_branch .LBB1_38
.LBB1_37:                               ;   in Loop: Header=BB1_34 Depth=1
	s_mov_b64 s[22:23], s[18:19]
	s_and_b64 exec, exec, s[22:23]
	s_cbranch_execz .LBB1_33
.LBB1_38:                               ;   in Loop: Header=BB1_34 Depth=1
	v_lshl_add_u32 v3, v3, 2, v7
	ds_add_u32 v3, v6
	s_branch .LBB1_33
.LBB1_39:
	s_or_b64 exec, exec, s[6:7]
	s_ashr_i32 s7, s29, 31
	s_ashr_i32 s6, s11, 31
	v_cmp_gt_i32_e32 vcc, s8, v0
	v_mov_b32_e32 v1, 0
	s_waitcnt lgkmcnt(0)
	s_barrier
	s_and_saveexec_b64 s[0:1], vcc
	s_cbranch_execz .LBB1_41
; %bb.40:
	v_mov_b32_e32 v1, 0x1080
	v_lshl_add_u32 v1, v0, 2, v1
	ds_read_b32 v1, v1
	s_waitcnt lgkmcnt(0)
	v_add_u32_e32 v1, s28, v1
	v_sub_u32_e32 v2, 0, v1
	v_max_i32_e32 v2, v1, v2
	v_mul_hi_u32 v3, v2, s25
	v_ashrrev_i32_e32 v4, 31, v1
	v_mul_lo_u32 v3, v3, s24
	v_sub_u32_e32 v2, v2, v3
	v_subrev_u32_e32 v3, s24, v2
	v_cmp_le_u32_e32 vcc, s24, v2
	v_cndmask_b32_e32 v2, v2, v3, vcc
	v_subrev_u32_e32 v3, s24, v2
	v_cmp_le_u32_e32 vcc, s24, v2
	v_cndmask_b32_e32 v2, v2, v3, vcc
	v_xor_b32_e32 v2, v2, v4
	v_sub_u32_e32 v2, v4, v2
	v_add_u32_e32 v1, v1, v2
.LBB1_41:
	s_or_b64 exec, exec, s[0:1]
	v_lshrrev_b32_e32 v2, 3, v0
	v_and_b32_e32 v2, 0x7c, v2
	v_lshl_add_u32 v2, v0, 2, v2
	v_cmp_gt_u32_e32 vcc, 64, v0
	ds_write_b32 v2, v1
	s_waitcnt lgkmcnt(0)
	s_barrier
	s_and_saveexec_b64 s[0:1], vcc
	s_cbranch_execz .LBB1_43
; %bb.42:
	v_lshlrev_b32_e32 v2, 1, v0
	v_and_b32_e32 v2, 0x7fc, v2
	v_lshl_add_u32 v14, v0, 6, v2
	ds_read2_b32 v[2:3], v14 offset1:1
	ds_read2_b32 v[6:7], v14 offset0:2 offset1:3
	ds_read2_b32 v[8:9], v14 offset0:4 offset1:5
	;; [unrolled: 1-line block ×3, first 2 shown]
	s_waitcnt lgkmcnt(3)
	v_add_u32_e32 v3, v3, v2
	s_waitcnt lgkmcnt(2)
	v_add3_u32 v3, v3, v6, v7
	s_waitcnt lgkmcnt(1)
	v_add3_u32 v15, v3, v8, v9
	ds_read2_b32 v[3:4], v14 offset0:8 offset1:9
	ds_read2_b32 v[6:7], v14 offset0:10 offset1:11
	;; [unrolled: 1-line block ×4, first 2 shown]
	s_waitcnt lgkmcnt(4)
	v_add3_u32 v10, v15, v10, v11
	s_waitcnt lgkmcnt(3)
	v_add3_u32 v3, v10, v3, v4
	;; [unrolled: 2-line block ×3, first 2 shown]
	v_mbcnt_lo_u32_b32 v4, -1, 0
	s_waitcnt lgkmcnt(1)
	v_add3_u32 v3, v3, v8, v9
	v_mbcnt_hi_u32_b32 v4, -1, v4
	s_waitcnt lgkmcnt(0)
	v_add3_u32 v3, v3, v12, v13
	v_and_b32_e32 v6, 15, v4
	v_cmp_ne_u32_e32 vcc, 0, v6
	v_mov_b32_dpp v7, v3 row_shr:1 row_mask:0xf bank_mask:0xf
	v_cndmask_b32_e32 v7, 0, v7, vcc
	v_add_u32_e32 v3, v7, v3
	v_cmp_lt_u32_e32 vcc, 1, v6
	s_nop 0
	v_mov_b32_dpp v7, v3 row_shr:2 row_mask:0xf bank_mask:0xf
	v_cndmask_b32_e32 v7, 0, v7, vcc
	v_add_u32_e32 v3, v3, v7
	v_cmp_lt_u32_e32 vcc, 3, v6
	; wave barrier
	s_nop 0
	v_mov_b32_dpp v7, v3 row_shr:4 row_mask:0xf bank_mask:0xf
	v_cndmask_b32_e32 v7, 0, v7, vcc
	v_add_u32_e32 v3, v3, v7
	v_cmp_lt_u32_e32 vcc, 7, v6
	s_nop 0
	v_mov_b32_dpp v7, v3 row_shr:8 row_mask:0xf bank_mask:0xf
	v_cndmask_b32_e32 v6, 0, v7, vcc
	v_add_u32_e32 v3, v3, v6
	v_bfe_i32 v7, v4, 4, 1
	v_cmp_lt_u32_e32 vcc, 31, v4
	v_mov_b32_dpp v6, v3 row_bcast:15 row_mask:0xf bank_mask:0xf
	v_and_b32_e32 v6, v7, v6
	v_add_u32_e32 v3, v3, v6
	v_and_b32_e32 v7, 64, v4
	s_nop 0
	v_mov_b32_dpp v6, v3 row_bcast:31 row_mask:0xf bank_mask:0xf
	v_cndmask_b32_e32 v6, 0, v6, vcc
	v_add_u32_e32 v3, v3, v6
	v_add_u32_e32 v6, -1, v4
	v_cmp_lt_i32_e32 vcc, v6, v7
	v_cndmask_b32_e32 v4, v6, v4, vcc
	v_lshlrev_b32_e32 v4, 2, v4
	ds_bpermute_b32 v3, v4, v3
	v_cmp_eq_u32_e32 vcc, 0, v0
	s_waitcnt lgkmcnt(0)
	v_add_u32_e32 v2, v3, v2
	v_cndmask_b32_e32 v10, v2, v1, vcc
	ds_write_b32 v14, v10
	; wave barrier
	ds_read2_b32 v[1:2], v14 offset0:1 offset1:2
	ds_read2_b32 v[3:4], v14 offset0:3 offset1:4
	;; [unrolled: 1-line block ×4, first 2 shown]
	s_waitcnt lgkmcnt(3)
	v_add_u32_e32 v1, v1, v10
	v_add_u32_e32 v2, v2, v1
	ds_write2_b32 v14, v1, v2 offset0:1 offset1:2
	s_waitcnt lgkmcnt(3)
	v_add_u32_e32 v1, v3, v2
	v_add_u32_e32 v2, v4, v1
	ds_write2_b32 v14, v1, v2 offset0:3 offset1:4
	;; [unrolled: 4-line block ×3, first 2 shown]
	s_waitcnt lgkmcnt(3)
	v_add_u32_e32 v3, v8, v2
	ds_read2_b32 v[1:2], v14 offset0:9 offset1:10
	v_add_u32_e32 v8, v9, v3
	ds_write2_b32 v14, v3, v8 offset0:7 offset1:8
	ds_read2_b32 v[3:4], v14 offset0:11 offset1:12
	ds_read2_b32 v[6:7], v14 offset0:13 offset1:14
	ds_read_b32 v9, v14 offset:60
	s_waitcnt lgkmcnt(4)
	v_add_u32_e32 v1, v1, v8
	v_add_u32_e32 v2, v2, v1
	ds_write2_b32 v14, v1, v2 offset0:9 offset1:10
	s_waitcnt lgkmcnt(3)
	v_add_u32_e32 v1, v3, v2
	v_add_u32_e32 v2, v4, v1
	ds_write2_b32 v14, v1, v2 offset0:11 offset1:12
	;; [unrolled: 4-line block ×3, first 2 shown]
	s_waitcnt lgkmcnt(3)
	v_add_u32_e32 v1, v9, v2
	ds_write_b32 v14, v1 offset:60
.LBB1_43:
	s_or_b64 exec, exec, s[0:1]
	v_mov_b32_e32 v1, 0
	v_cmp_ne_u32_e32 vcc, 0, v0
	s_waitcnt lgkmcnt(0)
	s_barrier
	s_and_saveexec_b64 s[0:1], vcc
	s_cbranch_execnz .LBB1_55
; %bb.44:
	s_or_b64 exec, exec, s[0:1]
	v_cmp_ge_i32_e32 vcc, s8, v0
	s_and_saveexec_b64 s[0:1], vcc
	s_cbranch_execnz .LBB1_56
.LBB1_45:
	s_or_b64 exec, exec, s[0:1]
	v_cmp_eq_u32_e32 vcc, s8, v0
	s_and_saveexec_b64 s[0:1], vcc
	s_cbranch_execz .LBB1_47
.LBB1_46:
	v_mov_b32_e32 v2, 0
	s_waitcnt lgkmcnt(0)
	global_store_dword v2, v1, s[14:15]
.LBB1_47:
	s_or_b64 exec, exec, s[0:1]
	v_cmp_gt_u32_e32 vcc, s8, v0
	s_waitcnt vmcnt(0) lgkmcnt(0)
	s_barrier
	s_and_saveexec_b64 s[0:1], vcc
	s_cbranch_execz .LBB1_51
; %bb.48:
	global_load_dwordx2 v[1:2], v5, s[2:3]
	s_waitcnt vmcnt(0)
	v_cmp_lt_i32_e32 vcc, v1, v2
	s_and_b64 exec, exec, vcc
	s_cbranch_execz .LBB1_51
; %bb.49:
	s_mov_b64 s[4:5], 0
	v_mov_b32_e32 v3, s13
.LBB1_50:                               ; =>This Inner Loop Header: Depth=1
	v_sub_u32_e32 v5, 0, v1
	v_max_i32_e32 v5, v1, v5
	v_mul_hi_u32 v6, v5, s25
	v_ashrrev_i32_e32 v4, 31, v1
	v_add_u32_e32 v1, s11, v1
	v_cmp_ge_i32_e32 vcc, v1, v2
	v_mul_lo_u32 v7, v6, s24
	s_or_b64 s[4:5], vcc, s[4:5]
	v_add_u32_e32 v8, 1, v6
	v_xor_b32_e32 v4, s6, v4
	v_sub_u32_e32 v5, v5, v7
	v_cmp_le_u32_e32 vcc, s24, v5
	v_subrev_u32_e32 v7, s24, v5
	v_cndmask_b32_e32 v6, v6, v8, vcc
	v_cndmask_b32_e32 v5, v5, v7, vcc
	v_add_u32_e32 v7, 1, v6
	v_cmp_le_u32_e32 vcc, s24, v5
	v_cndmask_b32_e32 v5, v6, v7, vcc
	v_xor_b32_e32 v5, v5, v4
	v_sub_u32_e32 v4, v5, v4
	v_ashrrev_i32_e32 v5, 31, v4
	v_lshlrev_b64 v[4:5], 2, v[4:5]
	v_add_co_u32_e32 v4, vcc, s12, v4
	v_addc_co_u32_e32 v5, vcc, v3, v5, vcc
	global_store_dword v[4:5], v0, off
	s_andn2_b64 exec, exec, s[4:5]
	s_cbranch_execnz .LBB1_50
.LBB1_51:
	s_or_b64 exec, exec, s[0:1]
	s_mul_i32 s1, s9, s24
	s_sub_i32 s1, s26, s1
	s_xor_b32 s0, s7, s6
	s_add_i32 s4, s9, 1
	s_sub_i32 s5, s1, s24
	s_cmp_ge_u32 s1, s24
	s_cselect_b32 s4, s4, s9
	s_cselect_b32 s1, s5, s1
	s_add_i32 s5, s4, 1
	s_cmp_ge_u32 s1, s24
	s_cselect_b32 s1, s5, s4
	s_xor_b32 s1, s1, s0
	s_ashr_i32 s9, s8, 31
	s_sub_i32 s4, s1, s0
	s_lshl_b64 s[0:1], s[8:9], 2
	s_add_u32 s0, s2, s0
	s_addc_u32 s1, s3, s1
	v_mov_b32_e32 v2, 0
	global_load_dword v1, v2, s[0:1]
	s_waitcnt vmcnt(0)
	v_readfirstlane_b32 s0, v1
	s_ashr_i32 s1, s0, 31
	s_abs_i32 s0, s0
	s_mul_hi_u32 s2, s0, s25
	s_mul_i32 s3, s2, s24
	s_sub_i32 s0, s0, s3
	s_xor_b32 s1, s1, s6
	s_add_i32 s5, s2, 1
	s_sub_i32 s3, s0, s24
	s_cmp_ge_u32 s0, s24
	s_cselect_b32 s2, s5, s2
	s_cselect_b32 s0, s3, s0
	s_add_i32 s3, s2, 1
	s_cmp_ge_u32 s0, s24
	s_cselect_b32 s0, s3, s2
	s_xor_b32 s0, s0, s1
	s_sub_i32 s0, s0, s1
	v_add_u32_e32 v0, s0, v0
	v_cmp_gt_i32_e32 vcc, s4, v0
	s_and_saveexec_b64 s[0:1], vcc
	s_cbranch_execz .LBB1_54
; %bb.52:
	s_mov_b64 s[0:1], 0
	v_mov_b32_e32 v3, s13
.LBB1_53:                               ; =>This Inner Loop Header: Depth=1
	v_ashrrev_i32_e32 v1, 31, v0
	v_lshlrev_b64 v[4:5], 2, v[0:1]
	v_add_u32_e32 v0, s10, v0
	v_add_co_u32_e32 v4, vcc, s12, v4
	v_addc_co_u32_e32 v5, vcc, v3, v5, vcc
	v_cmp_le_i32_e32 vcc, s4, v0
	s_or_b64 s[0:1], vcc, s[0:1]
	global_store_dword v[4:5], v2, off
	s_andn2_b64 exec, exec, s[0:1]
	s_cbranch_execnz .LBB1_53
.LBB1_54:
	s_endpgm
.LBB1_55:
	v_add_u32_e32 v1, -1, v0
	v_lshrrev_b32_e32 v2, 3, v1
	v_and_b32_e32 v2, 0x1ffffffc, v2
	v_lshl_add_u32 v1, v1, 2, v2
	ds_read_b32 v1, v1
	s_or_b64 exec, exec, s[0:1]
	v_cmp_ge_i32_e32 vcc, s8, v0
	s_and_saveexec_b64 s[0:1], vcc
	s_cbranch_execz .LBB1_45
.LBB1_56:
	s_waitcnt lgkmcnt(0)
	global_store_dword v5, v1, s[2:3]
	s_or_b64 exec, exec, s[0:1]
	v_cmp_eq_u32_e32 vcc, s8, v0
	s_and_saveexec_b64 s[0:1], vcc
	s_cbranch_execnz .LBB1_46
	s_branch .LBB1_47
	.section	.rodata,"a",@progbits
	.p2align	6, 0x0
	.amdhsa_kernel _Z27moe_align_block_size_kernelIiEvPKT_PiS3_S3_S3_iiiiiS3_ii
		.amdhsa_group_segment_fixed_size 4224
		.amdhsa_private_segment_fixed_size 0
		.amdhsa_kernarg_size 336
		.amdhsa_user_sgpr_count 6
		.amdhsa_user_sgpr_private_segment_buffer 1
		.amdhsa_user_sgpr_dispatch_ptr 0
		.amdhsa_user_sgpr_queue_ptr 0
		.amdhsa_user_sgpr_kernarg_segment_ptr 1
		.amdhsa_user_sgpr_dispatch_id 0
		.amdhsa_user_sgpr_flat_scratch_init 0
		.amdhsa_user_sgpr_private_segment_size 0
		.amdhsa_uses_dynamic_stack 0
		.amdhsa_system_sgpr_private_segment_wavefront_offset 0
		.amdhsa_system_sgpr_workgroup_id_x 1
		.amdhsa_system_sgpr_workgroup_id_y 0
		.amdhsa_system_sgpr_workgroup_id_z 0
		.amdhsa_system_sgpr_workgroup_info 0
		.amdhsa_system_vgpr_workitem_id 0
		.amdhsa_next_free_vgpr 29
		.amdhsa_next_free_sgpr 61
		.amdhsa_reserve_vcc 1
		.amdhsa_reserve_flat_scratch 0
		.amdhsa_float_round_mode_32 0
		.amdhsa_float_round_mode_16_64 0
		.amdhsa_float_denorm_mode_32 3
		.amdhsa_float_denorm_mode_16_64 3
		.amdhsa_dx10_clamp 1
		.amdhsa_ieee_mode 1
		.amdhsa_fp16_overflow 0
		.amdhsa_exception_fp_ieee_invalid_op 0
		.amdhsa_exception_fp_denorm_src 0
		.amdhsa_exception_fp_ieee_div_zero 0
		.amdhsa_exception_fp_ieee_overflow 0
		.amdhsa_exception_fp_ieee_underflow 0
		.amdhsa_exception_fp_ieee_inexact 0
		.amdhsa_exception_int_div_zero 0
	.end_amdhsa_kernel
	.section	.text._Z27moe_align_block_size_kernelIiEvPKT_PiS3_S3_S3_iiiiiS3_ii,"axG",@progbits,_Z27moe_align_block_size_kernelIiEvPKT_PiS3_S3_S3_iiiiiS3_ii,comdat
.Lfunc_end1:
	.size	_Z27moe_align_block_size_kernelIiEvPKT_PiS3_S3_S3_iiiiiS3_ii, .Lfunc_end1-_Z27moe_align_block_size_kernelIiEvPKT_PiS3_S3_S3_iiiiiS3_ii
                                        ; -- End function
	.set _Z27moe_align_block_size_kernelIiEvPKT_PiS3_S3_S3_iiiiiS3_ii.num_vgpr, 16
	.set _Z27moe_align_block_size_kernelIiEvPKT_PiS3_S3_S3_iiiiiS3_ii.num_agpr, 0
	.set _Z27moe_align_block_size_kernelIiEvPKT_PiS3_S3_S3_iiiiiS3_ii.numbered_sgpr, 36
	.set _Z27moe_align_block_size_kernelIiEvPKT_PiS3_S3_S3_iiiiiS3_ii.num_named_barrier, 0
	.set _Z27moe_align_block_size_kernelIiEvPKT_PiS3_S3_S3_iiiiiS3_ii.private_seg_size, 0
	.set _Z27moe_align_block_size_kernelIiEvPKT_PiS3_S3_S3_iiiiiS3_ii.uses_vcc, 1
	.set _Z27moe_align_block_size_kernelIiEvPKT_PiS3_S3_S3_iiiiiS3_ii.uses_flat_scratch, 0
	.set _Z27moe_align_block_size_kernelIiEvPKT_PiS3_S3_S3_iiiiiS3_ii.has_dyn_sized_stack, 0
	.set _Z27moe_align_block_size_kernelIiEvPKT_PiS3_S3_S3_iiiiiS3_ii.has_recursion, 0
	.set _Z27moe_align_block_size_kernelIiEvPKT_PiS3_S3_S3_iiiiiS3_ii.has_indirect_call, 0
	.section	.AMDGPU.csdata,"",@progbits
; Kernel info:
; codeLenInByte = 2268
; TotalNumSgprs: 40
; NumVgprs: 16
; ScratchSize: 0
; MemoryBound: 0
; FloatMode: 240
; IeeeMode: 1
; LDSByteSize: 4224 bytes/workgroup (compile time only)
; SGPRBlocks: 8
; VGPRBlocks: 7
; NumSGPRsForWavesPerEU: 65
; NumVGPRsForWavesPerEU: 29
; Occupancy: 8
; WaveLimiterHint : 1
; COMPUTE_PGM_RSRC2:SCRATCH_EN: 0
; COMPUTE_PGM_RSRC2:USER_SGPR: 6
; COMPUTE_PGM_RSRC2:TRAP_HANDLER: 0
; COMPUTE_PGM_RSRC2:TGID_X_EN: 1
; COMPUTE_PGM_RSRC2:TGID_Y_EN: 0
; COMPUTE_PGM_RSRC2:TGID_Z_EN: 0
; COMPUTE_PGM_RSRC2:TIDIG_COMP_CNT: 0
	.section	.text._Z35count_and_sort_expert_tokens_kernelIiEvPKT_PiS3_S3_iiii,"axG",@progbits,_Z35count_and_sort_expert_tokens_kernelIiEvPKT_PiS3_S3_iiii,comdat
	.protected	_Z35count_and_sort_expert_tokens_kernelIiEvPKT_PiS3_S3_iiii ; -- Begin function _Z35count_and_sort_expert_tokens_kernelIiEvPKT_PiS3_S3_iiii
	.globl	_Z35count_and_sort_expert_tokens_kernelIiEvPKT_PiS3_S3_iiii
	.p2align	8
	.type	_Z35count_and_sort_expert_tokens_kernelIiEvPKT_PiS3_S3_iiii,@function
_Z35count_and_sort_expert_tokens_kernelIiEvPKT_PiS3_S3_iiii: ; @_Z35count_and_sort_expert_tokens_kernelIiEvPKT_PiS3_S3_iiii
; %bb.0:
	s_load_dword s6, s[4:5], 0x3c
	s_load_dwordx2 s[2:3], s[4:5], 0x20
	s_add_u32 s0, s4, 48
	s_addc_u32 s1, s5, 0
	s_waitcnt lgkmcnt(0)
	s_and_b32 s6, s6, 0xffff
	s_mul_i32 s7, s7, s6
	v_add_u32_e32 v0, s7, v0
	v_cmp_gt_i32_e32 vcc, s2, v0
	s_and_saveexec_b64 s[8:9], vcc
	s_cbranch_execz .LBB2_8
; %bb.1:
	s_load_dword s7, s[0:1], 0x4
	s_load_dwordx8 s[8:15], s[4:5], 0x0
	v_ashrrev_i32_e32 v1, 31, v0
	v_lshlrev_b64 v[1:2], 2, v[0:1]
	s_mov_b64 s[4:5], 0
	s_waitcnt lgkmcnt(0)
	s_mul_i32 s6, s7, s6
	s_cmp_eq_u64 s[14:15], 0
	s_cselect_b64 s[16:17], -1, 0
	s_cmp_lg_u64 s[14:15], 0
	s_cselect_b64 s[0:1], -1, 0
	v_mov_b32_e32 v3, s9
	v_add_co_u32_e32 v1, vcc, s8, v1
	s_ashr_i32 s7, s6, 31
	v_addc_co_u32_e32 v2, vcc, v3, v2, vcc
	s_lshl_b64 s[8:9], s[6:7], 2
	v_cndmask_b32_e64 v3, 0, 1, s[0:1]
	v_cmp_ne_u32_e64 s[0:1], 1, v3
	v_mov_b32_e32 v5, 1
	v_mov_b32_e32 v6, s9
	s_branch .LBB2_3
.LBB2_2:                                ;   in Loop: Header=BB2_3 Depth=1
	s_or_b64 exec, exec, s[18:19]
	v_add_u32_e32 v0, s6, v0
	v_cmp_le_i32_e32 vcc, s2, v0
	s_or_b64 s[4:5], vcc, s[4:5]
	v_add_co_u32_e32 v1, vcc, s8, v1
	v_addc_co_u32_e32 v2, vcc, v2, v6, vcc
	s_andn2_b64 exec, exec, s[4:5]
	s_cbranch_execz .LBB2_8
.LBB2_3:                                ; =>This Inner Loop Header: Depth=1
	global_load_dword v3, v[1:2], off
	s_waitcnt vmcnt(0)
	v_cmp_gt_i32_e32 vcc, s3, v3
	s_and_saveexec_b64 s[18:19], vcc
	s_cbranch_execz .LBB2_2
; %bb.4:                                ;   in Loop: Header=BB2_3 Depth=1
	s_and_b64 vcc, exec, s[0:1]
	s_cbranch_vccnz .LBB2_6
; %bb.5:                                ;   in Loop: Header=BB2_3 Depth=1
	v_ashrrev_i32_e32 v4, 31, v3
	v_lshlrev_b64 v[3:4], 2, v[3:4]
	v_mov_b32_e32 v7, s15
	v_add_co_u32_e32 v3, vcc, s14, v3
	v_addc_co_u32_e32 v4, vcc, v7, v4, vcc
	global_load_dword v3, v[3:4], off
	s_andn2_b64 s[20:21], s[16:17], exec
	s_waitcnt vmcnt(0)
	v_cmp_ne_u32_e32 vcc, -1, v3
	s_and_b64 s[22:23], vcc, exec
	s_or_b64 s[20:21], s[20:21], s[22:23]
	s_and_b64 exec, exec, s[20:21]
	s_cbranch_execz .LBB2_2
	s_branch .LBB2_7
.LBB2_6:                                ;   in Loop: Header=BB2_3 Depth=1
	s_mov_b64 s[20:21], s[16:17]
	s_and_b64 exec, exec, s[20:21]
	s_cbranch_execz .LBB2_2
.LBB2_7:                                ;   in Loop: Header=BB2_3 Depth=1
	v_ashrrev_i32_e32 v4, 31, v3
	v_lshlrev_b64 v[3:4], 2, v[3:4]
	v_mov_b32_e32 v7, s13
	v_add_co_u32_e32 v3, vcc, s12, v3
	v_addc_co_u32_e32 v4, vcc, v7, v4, vcc
	global_atomic_add v3, v[3:4], v5, off glc
	v_mov_b32_e32 v7, s11
	s_waitcnt vmcnt(0)
	v_ashrrev_i32_e32 v4, 31, v3
	v_lshlrev_b64 v[3:4], 2, v[3:4]
	v_add_co_u32_e32 v3, vcc, s10, v3
	v_addc_co_u32_e32 v4, vcc, v7, v4, vcc
	global_store_dword v[3:4], v0, off
	s_branch .LBB2_2
.LBB2_8:
	s_endpgm
	.section	.rodata,"a",@progbits
	.p2align	6, 0x0
	.amdhsa_kernel _Z35count_and_sort_expert_tokens_kernelIiEvPKT_PiS3_S3_iiii
		.amdhsa_group_segment_fixed_size 0
		.amdhsa_private_segment_fixed_size 0
		.amdhsa_kernarg_size 304
		.amdhsa_user_sgpr_count 6
		.amdhsa_user_sgpr_private_segment_buffer 1
		.amdhsa_user_sgpr_dispatch_ptr 0
		.amdhsa_user_sgpr_queue_ptr 0
		.amdhsa_user_sgpr_kernarg_segment_ptr 1
		.amdhsa_user_sgpr_dispatch_id 0
		.amdhsa_user_sgpr_flat_scratch_init 0
		.amdhsa_user_sgpr_private_segment_size 0
		.amdhsa_uses_dynamic_stack 0
		.amdhsa_system_sgpr_private_segment_wavefront_offset 0
		.amdhsa_system_sgpr_workgroup_id_x 1
		.amdhsa_system_sgpr_workgroup_id_y 1
		.amdhsa_system_sgpr_workgroup_id_z 0
		.amdhsa_system_sgpr_workgroup_info 0
		.amdhsa_system_vgpr_workitem_id 0
		.amdhsa_next_free_vgpr 8
		.amdhsa_next_free_sgpr 24
		.amdhsa_reserve_vcc 1
		.amdhsa_reserve_flat_scratch 0
		.amdhsa_float_round_mode_32 0
		.amdhsa_float_round_mode_16_64 0
		.amdhsa_float_denorm_mode_32 3
		.amdhsa_float_denorm_mode_16_64 3
		.amdhsa_dx10_clamp 1
		.amdhsa_ieee_mode 1
		.amdhsa_fp16_overflow 0
		.amdhsa_exception_fp_ieee_invalid_op 0
		.amdhsa_exception_fp_denorm_src 0
		.amdhsa_exception_fp_ieee_div_zero 0
		.amdhsa_exception_fp_ieee_overflow 0
		.amdhsa_exception_fp_ieee_underflow 0
		.amdhsa_exception_fp_ieee_inexact 0
		.amdhsa_exception_int_div_zero 0
	.end_amdhsa_kernel
	.section	.text._Z35count_and_sort_expert_tokens_kernelIiEvPKT_PiS3_S3_iiii,"axG",@progbits,_Z35count_and_sort_expert_tokens_kernelIiEvPKT_PiS3_S3_iiii,comdat
.Lfunc_end2:
	.size	_Z35count_and_sort_expert_tokens_kernelIiEvPKT_PiS3_S3_iiii, .Lfunc_end2-_Z35count_and_sort_expert_tokens_kernelIiEvPKT_PiS3_S3_iiii
                                        ; -- End function
	.set _Z35count_and_sort_expert_tokens_kernelIiEvPKT_PiS3_S3_iiii.num_vgpr, 8
	.set _Z35count_and_sort_expert_tokens_kernelIiEvPKT_PiS3_S3_iiii.num_agpr, 0
	.set _Z35count_and_sort_expert_tokens_kernelIiEvPKT_PiS3_S3_iiii.numbered_sgpr, 24
	.set _Z35count_and_sort_expert_tokens_kernelIiEvPKT_PiS3_S3_iiii.num_named_barrier, 0
	.set _Z35count_and_sort_expert_tokens_kernelIiEvPKT_PiS3_S3_iiii.private_seg_size, 0
	.set _Z35count_and_sort_expert_tokens_kernelIiEvPKT_PiS3_S3_iiii.uses_vcc, 1
	.set _Z35count_and_sort_expert_tokens_kernelIiEvPKT_PiS3_S3_iiii.uses_flat_scratch, 0
	.set _Z35count_and_sort_expert_tokens_kernelIiEvPKT_PiS3_S3_iiii.has_dyn_sized_stack, 0
	.set _Z35count_and_sort_expert_tokens_kernelIiEvPKT_PiS3_S3_iiii.has_recursion, 0
	.set _Z35count_and_sort_expert_tokens_kernelIiEvPKT_PiS3_S3_iiii.has_indirect_call, 0
	.section	.AMDGPU.csdata,"",@progbits
; Kernel info:
; codeLenInByte = 376
; TotalNumSgprs: 28
; NumVgprs: 8
; ScratchSize: 0
; MemoryBound: 0
; FloatMode: 240
; IeeeMode: 1
; LDSByteSize: 0 bytes/workgroup (compile time only)
; SGPRBlocks: 3
; VGPRBlocks: 1
; NumSGPRsForWavesPerEU: 28
; NumVGPRsForWavesPerEU: 8
; Occupancy: 10
; WaveLimiterHint : 1
; COMPUTE_PGM_RSRC2:SCRATCH_EN: 0
; COMPUTE_PGM_RSRC2:USER_SGPR: 6
; COMPUTE_PGM_RSRC2:TRAP_HANDLER: 0
; COMPUTE_PGM_RSRC2:TGID_X_EN: 1
; COMPUTE_PGM_RSRC2:TGID_Y_EN: 1
; COMPUTE_PGM_RSRC2:TGID_Z_EN: 0
; COMPUTE_PGM_RSRC2:TIDIG_COMP_CNT: 0
	.section	.AMDGPU.gpr_maximums,"",@progbits
	.set amdgpu.max_num_vgpr, 0
	.set amdgpu.max_num_agpr, 0
	.set amdgpu.max_num_sgpr, 0
	.section	.AMDGPU.csdata,"",@progbits
	.type	__hip_cuid_46e3921037c048e6,@object ; @__hip_cuid_46e3921037c048e6
	.section	.bss,"aw",@nobits
	.globl	__hip_cuid_46e3921037c048e6
__hip_cuid_46e3921037c048e6:
	.byte	0                               ; 0x0
	.size	__hip_cuid_46e3921037c048e6, 1

	.ident	"AMD clang version 22.0.0git (https://github.com/RadeonOpenCompute/llvm-project roc-7.2.4 26084 f58b06dce1f9c15707c5f808fd002e18c2accf7e)"
	.section	".note.GNU-stack","",@progbits
	.addrsig
	.addrsig_sym shared_counts
	.addrsig_sym __hip_cuid_46e3921037c048e6
	.amdgpu_metadata
---
amdhsa.kernels:
  - .args:
      - .actual_access:  read_only
        .address_space:  global
        .offset:         0
        .size:           8
        .value_kind:     global_buffer
      - .actual_access:  write_only
        .address_space:  global
        .offset:         8
        .size:           8
        .value_kind:     global_buffer
      - .actual_access:  write_only
        .address_space:  global
        .offset:         16
        .size:           8
        .value_kind:     global_buffer
      - .actual_access:  write_only
        .address_space:  global
        .offset:         24
        .size:           8
        .value_kind:     global_buffer
      - .actual_access:  read_only
        .address_space:  global
        .offset:         32
        .size:           8
        .value_kind:     global_buffer
      - .offset:         40
        .size:           4
        .value_kind:     by_value
      - .offset:         44
        .size:           4
        .value_kind:     by_value
      - .offset:         48
        .size:           4
        .value_kind:     by_value
      - .offset:         52
        .size:           4
        .value_kind:     by_value
      - .offset:         56
        .size:           4
        .value_kind:     by_value
      - .offset:         64
        .size:           4
        .value_kind:     hidden_block_count_x
      - .offset:         68
        .size:           4
        .value_kind:     hidden_block_count_y
      - .offset:         72
        .size:           4
        .value_kind:     hidden_block_count_z
      - .offset:         76
        .size:           2
        .value_kind:     hidden_group_size_x
      - .offset:         78
        .size:           2
        .value_kind:     hidden_group_size_y
      - .offset:         80
        .size:           2
        .value_kind:     hidden_group_size_z
      - .offset:         82
        .size:           2
        .value_kind:     hidden_remainder_x
      - .offset:         84
        .size:           2
        .value_kind:     hidden_remainder_y
      - .offset:         86
        .size:           2
        .value_kind:     hidden_remainder_z
      - .offset:         104
        .size:           8
        .value_kind:     hidden_global_offset_x
      - .offset:         112
        .size:           8
        .value_kind:     hidden_global_offset_y
      - .offset:         120
        .size:           8
        .value_kind:     hidden_global_offset_z
      - .offset:         128
        .size:           2
        .value_kind:     hidden_grid_dims
      - .offset:         184
        .size:           4
        .value_kind:     hidden_dynamic_lds_size
    .group_segment_fixed_size: 0
    .kernarg_segment_align: 8
    .kernarg_segment_size: 320
    .language:       OpenCL C
    .language_version:
      - 2
      - 0
    .max_flat_workgroup_size: 1024
    .name:           _Z46moe_align_block_size_small_batch_expert_kernelIiLi256EEvPKT_PiS3_S3_S3_iiiii
    .private_segment_fixed_size: 0
    .sgpr_count:     46
    .sgpr_spill_count: 0
    .symbol:         _Z46moe_align_block_size_small_batch_expert_kernelIiLi256EEvPKT_PiS3_S3_S3_iiiii.kd
    .uniform_work_group_size: 1
    .uses_dynamic_stack: false
    .vgpr_count:     10
    .vgpr_spill_count: 0
    .wavefront_size: 64
  - .args:
      - .actual_access:  read_only
        .address_space:  global
        .offset:         0
        .size:           8
        .value_kind:     global_buffer
      - .actual_access:  write_only
        .address_space:  global
        .offset:         8
        .size:           8
        .value_kind:     global_buffer
      - .actual_access:  write_only
        .address_space:  global
        .offset:         16
        .size:           8
        .value_kind:     global_buffer
      - .actual_access:  write_only
        .address_space:  global
        .offset:         24
        .size:           8
        .value_kind:     global_buffer
      - .actual_access:  read_only
        .address_space:  global
        .offset:         32
        .size:           8
        .value_kind:     global_buffer
      - .offset:         40
        .size:           4
        .value_kind:     by_value
      - .offset:         44
        .size:           4
        .value_kind:     by_value
      - .offset:         48
        .size:           4
        .value_kind:     by_value
      - .offset:         52
        .size:           4
        .value_kind:     by_value
      - .offset:         56
        .size:           4
        .value_kind:     by_value
      - .address_space:  global
        .offset:         64
        .size:           8
        .value_kind:     global_buffer
      - .offset:         72
        .size:           4
        .value_kind:     by_value
      - .offset:         76
        .size:           4
        .value_kind:     by_value
      - .offset:         80
        .size:           4
        .value_kind:     hidden_block_count_x
      - .offset:         84
        .size:           4
        .value_kind:     hidden_block_count_y
      - .offset:         88
        .size:           4
        .value_kind:     hidden_block_count_z
      - .offset:         92
        .size:           2
        .value_kind:     hidden_group_size_x
      - .offset:         94
        .size:           2
        .value_kind:     hidden_group_size_y
      - .offset:         96
        .size:           2
        .value_kind:     hidden_group_size_z
      - .offset:         98
        .size:           2
        .value_kind:     hidden_remainder_x
      - .offset:         100
        .size:           2
        .value_kind:     hidden_remainder_y
      - .offset:         102
        .size:           2
        .value_kind:     hidden_remainder_z
      - .offset:         120
        .size:           8
        .value_kind:     hidden_global_offset_x
      - .offset:         128
        .size:           8
        .value_kind:     hidden_global_offset_y
      - .offset:         136
        .size:           8
        .value_kind:     hidden_global_offset_z
      - .offset:         144
        .size:           2
        .value_kind:     hidden_grid_dims
      - .offset:         200
        .size:           4
        .value_kind:     hidden_dynamic_lds_size
    .group_segment_fixed_size: 4224
    .kernarg_segment_align: 8
    .kernarg_segment_size: 336
    .language:       OpenCL C
    .language_version:
      - 2
      - 0
    .max_flat_workgroup_size: 1024
    .name:           _Z27moe_align_block_size_kernelIiEvPKT_PiS3_S3_S3_iiiiiS3_ii
    .private_segment_fixed_size: 0
    .sgpr_count:     40
    .sgpr_spill_count: 0
    .symbol:         _Z27moe_align_block_size_kernelIiEvPKT_PiS3_S3_S3_iiiiiS3_ii.kd
    .uniform_work_group_size: 1
    .uses_dynamic_stack: false
    .vgpr_count:     16
    .vgpr_spill_count: 0
    .wavefront_size: 64
  - .args:
      - .actual_access:  read_only
        .address_space:  global
        .offset:         0
        .size:           8
        .value_kind:     global_buffer
      - .actual_access:  write_only
        .address_space:  global
        .offset:         8
        .size:           8
        .value_kind:     global_buffer
      - .address_space:  global
        .offset:         16
        .size:           8
        .value_kind:     global_buffer
      - .actual_access:  read_only
        .address_space:  global
        .offset:         24
        .size:           8
        .value_kind:     global_buffer
      - .offset:         32
        .size:           4
        .value_kind:     by_value
      - .offset:         36
        .size:           4
        .value_kind:     by_value
      - .offset:         40
        .size:           4
        .value_kind:     by_value
      - .offset:         44
        .size:           4
        .value_kind:     by_value
      - .offset:         48
        .size:           4
        .value_kind:     hidden_block_count_x
      - .offset:         52
        .size:           4
        .value_kind:     hidden_block_count_y
      - .offset:         56
        .size:           4
        .value_kind:     hidden_block_count_z
      - .offset:         60
        .size:           2
        .value_kind:     hidden_group_size_x
      - .offset:         62
        .size:           2
        .value_kind:     hidden_group_size_y
      - .offset:         64
        .size:           2
        .value_kind:     hidden_group_size_z
      - .offset:         66
        .size:           2
        .value_kind:     hidden_remainder_x
      - .offset:         68
        .size:           2
        .value_kind:     hidden_remainder_y
      - .offset:         70
        .size:           2
        .value_kind:     hidden_remainder_z
      - .offset:         88
        .size:           8
        .value_kind:     hidden_global_offset_x
      - .offset:         96
        .size:           8
        .value_kind:     hidden_global_offset_y
      - .offset:         104
        .size:           8
        .value_kind:     hidden_global_offset_z
      - .offset:         112
        .size:           2
        .value_kind:     hidden_grid_dims
    .group_segment_fixed_size: 0
    .kernarg_segment_align: 8
    .kernarg_segment_size: 304
    .language:       OpenCL C
    .language_version:
      - 2
      - 0
    .max_flat_workgroup_size: 1024
    .name:           _Z35count_and_sort_expert_tokens_kernelIiEvPKT_PiS3_S3_iiii
    .private_segment_fixed_size: 0
    .sgpr_count:     28
    .sgpr_spill_count: 0
    .symbol:         _Z35count_and_sort_expert_tokens_kernelIiEvPKT_PiS3_S3_iiii.kd
    .uniform_work_group_size: 1
    .uses_dynamic_stack: false
    .vgpr_count:     8
    .vgpr_spill_count: 0
    .wavefront_size: 64
amdhsa.target:   amdgcn-amd-amdhsa--gfx906
amdhsa.version:
  - 1
  - 2
...

	.end_amdgpu_metadata
